;; amdgpu-corpus repo=ROCm/rocFFT kind=compiled arch=gfx906 opt=O3
	.text
	.amdgcn_target "amdgcn-amd-amdhsa--gfx906"
	.amdhsa_code_object_version 6
	.protected	fft_rtc_fwd_len507_factors_13_3_13_wgs_117_tpt_39_halfLds_dp_ip_CI_unitstride_sbrr_dirReg ; -- Begin function fft_rtc_fwd_len507_factors_13_3_13_wgs_117_tpt_39_halfLds_dp_ip_CI_unitstride_sbrr_dirReg
	.globl	fft_rtc_fwd_len507_factors_13_3_13_wgs_117_tpt_39_halfLds_dp_ip_CI_unitstride_sbrr_dirReg
	.p2align	8
	.type	fft_rtc_fwd_len507_factors_13_3_13_wgs_117_tpt_39_halfLds_dp_ip_CI_unitstride_sbrr_dirReg,@function
fft_rtc_fwd_len507_factors_13_3_13_wgs_117_tpt_39_halfLds_dp_ip_CI_unitstride_sbrr_dirReg: ; @fft_rtc_fwd_len507_factors_13_3_13_wgs_117_tpt_39_halfLds_dp_ip_CI_unitstride_sbrr_dirReg
; %bb.0:
	v_mul_u32_u24_e32 v1, 0x691, v0
	s_load_dwordx2 s[2:3], s[4:5], 0x50
	s_load_dwordx4 s[8:11], s[4:5], 0x0
	s_load_dwordx2 s[12:13], s[4:5], 0x18
	v_lshrrev_b32_e32 v1, 16, v1
	v_mad_u64_u32 v[28:29], s[0:1], s6, 3, v[1:2]
	v_mov_b32_e32 v3, 0
	s_waitcnt lgkmcnt(0)
	v_cmp_lt_u64_e64 s[0:1], s[10:11], 2
	v_mov_b32_e32 v29, v3
	v_mov_b32_e32 v1, 0
	;; [unrolled: 1-line block ×3, first 2 shown]
	s_and_b64 vcc, exec, s[0:1]
	v_mov_b32_e32 v2, 0
	v_mov_b32_e32 v8, v29
	s_cbranch_vccnz .LBB0_8
; %bb.1:
	s_load_dwordx2 s[0:1], s[4:5], 0x10
	s_add_u32 s6, s12, 8
	s_addc_u32 s7, s13, 0
	v_mov_b32_e32 v1, 0
	v_mov_b32_e32 v5, v28
	s_waitcnt lgkmcnt(0)
	s_add_u32 s16, s0, 8
	s_mov_b64 s[14:15], 1
	v_mov_b32_e32 v2, 0
	s_addc_u32 s17, s1, 0
	v_mov_b32_e32 v6, v29
.LBB0_2:                                ; =>This Inner Loop Header: Depth=1
	s_load_dwordx2 s[18:19], s[16:17], 0x0
                                        ; implicit-def: $vgpr7_vgpr8
	s_waitcnt lgkmcnt(0)
	v_or_b32_e32 v4, s19, v6
	v_cmp_ne_u64_e32 vcc, 0, v[3:4]
	s_and_saveexec_b64 s[0:1], vcc
	s_xor_b64 s[20:21], exec, s[0:1]
	s_cbranch_execz .LBB0_4
; %bb.3:                                ;   in Loop: Header=BB0_2 Depth=1
	v_cvt_f32_u32_e32 v4, s18
	v_cvt_f32_u32_e32 v7, s19
	s_sub_u32 s0, 0, s18
	s_subb_u32 s1, 0, s19
	v_mac_f32_e32 v4, 0x4f800000, v7
	v_rcp_f32_e32 v4, v4
	v_mul_f32_e32 v4, 0x5f7ffffc, v4
	v_mul_f32_e32 v7, 0x2f800000, v4
	v_trunc_f32_e32 v7, v7
	v_mac_f32_e32 v4, 0xcf800000, v7
	v_cvt_u32_f32_e32 v7, v7
	v_cvt_u32_f32_e32 v4, v4
	v_mul_lo_u32 v8, s0, v7
	v_mul_hi_u32 v9, s0, v4
	v_mul_lo_u32 v11, s1, v4
	v_mul_lo_u32 v10, s0, v4
	v_add_u32_e32 v8, v9, v8
	v_add_u32_e32 v8, v8, v11
	v_mul_hi_u32 v9, v4, v10
	v_mul_lo_u32 v11, v4, v8
	v_mul_hi_u32 v13, v4, v8
	v_mul_hi_u32 v12, v7, v10
	v_mul_lo_u32 v10, v7, v10
	v_mul_hi_u32 v14, v7, v8
	v_add_co_u32_e32 v9, vcc, v9, v11
	v_addc_co_u32_e32 v11, vcc, 0, v13, vcc
	v_mul_lo_u32 v8, v7, v8
	v_add_co_u32_e32 v9, vcc, v9, v10
	v_addc_co_u32_e32 v9, vcc, v11, v12, vcc
	v_addc_co_u32_e32 v10, vcc, 0, v14, vcc
	v_add_co_u32_e32 v8, vcc, v9, v8
	v_addc_co_u32_e32 v9, vcc, 0, v10, vcc
	v_add_co_u32_e32 v4, vcc, v4, v8
	v_addc_co_u32_e32 v7, vcc, v7, v9, vcc
	v_mul_lo_u32 v8, s0, v7
	v_mul_hi_u32 v9, s0, v4
	v_mul_lo_u32 v10, s1, v4
	v_mul_lo_u32 v11, s0, v4
	v_add_u32_e32 v8, v9, v8
	v_add_u32_e32 v8, v8, v10
	v_mul_lo_u32 v12, v4, v8
	v_mul_hi_u32 v13, v4, v11
	v_mul_hi_u32 v14, v4, v8
	;; [unrolled: 1-line block ×3, first 2 shown]
	v_mul_lo_u32 v11, v7, v11
	v_mul_hi_u32 v9, v7, v8
	v_add_co_u32_e32 v12, vcc, v13, v12
	v_addc_co_u32_e32 v13, vcc, 0, v14, vcc
	v_mul_lo_u32 v8, v7, v8
	v_add_co_u32_e32 v11, vcc, v12, v11
	v_addc_co_u32_e32 v10, vcc, v13, v10, vcc
	v_addc_co_u32_e32 v9, vcc, 0, v9, vcc
	v_add_co_u32_e32 v8, vcc, v10, v8
	v_addc_co_u32_e32 v9, vcc, 0, v9, vcc
	v_add_co_u32_e32 v4, vcc, v4, v8
	v_addc_co_u32_e32 v9, vcc, v7, v9, vcc
	v_mad_u64_u32 v[7:8], s[0:1], v5, v9, 0
	v_mul_hi_u32 v10, v5, v4
	v_add_co_u32_e32 v11, vcc, v10, v7
	v_addc_co_u32_e32 v12, vcc, 0, v8, vcc
	v_mad_u64_u32 v[7:8], s[0:1], v6, v4, 0
	v_mad_u64_u32 v[9:10], s[0:1], v6, v9, 0
	v_add_co_u32_e32 v4, vcc, v11, v7
	v_addc_co_u32_e32 v4, vcc, v12, v8, vcc
	v_addc_co_u32_e32 v7, vcc, 0, v10, vcc
	v_add_co_u32_e32 v4, vcc, v4, v9
	v_addc_co_u32_e32 v9, vcc, 0, v7, vcc
	v_mul_lo_u32 v10, s19, v4
	v_mul_lo_u32 v11, s18, v9
	v_mad_u64_u32 v[7:8], s[0:1], s18, v4, 0
	v_add3_u32 v8, v8, v11, v10
	v_sub_u32_e32 v10, v6, v8
	v_mov_b32_e32 v11, s19
	v_sub_co_u32_e32 v7, vcc, v5, v7
	v_subb_co_u32_e64 v10, s[0:1], v10, v11, vcc
	v_subrev_co_u32_e64 v11, s[0:1], s18, v7
	v_subbrev_co_u32_e64 v10, s[0:1], 0, v10, s[0:1]
	v_cmp_le_u32_e64 s[0:1], s19, v10
	v_cndmask_b32_e64 v12, 0, -1, s[0:1]
	v_cmp_le_u32_e64 s[0:1], s18, v11
	v_cndmask_b32_e64 v11, 0, -1, s[0:1]
	v_cmp_eq_u32_e64 s[0:1], s19, v10
	v_cndmask_b32_e64 v10, v12, v11, s[0:1]
	v_add_co_u32_e64 v11, s[0:1], 2, v4
	v_addc_co_u32_e64 v12, s[0:1], 0, v9, s[0:1]
	v_add_co_u32_e64 v13, s[0:1], 1, v4
	v_addc_co_u32_e64 v14, s[0:1], 0, v9, s[0:1]
	v_subb_co_u32_e32 v8, vcc, v6, v8, vcc
	v_cmp_ne_u32_e64 s[0:1], 0, v10
	v_cmp_le_u32_e32 vcc, s19, v8
	v_cndmask_b32_e64 v10, v14, v12, s[0:1]
	v_cndmask_b32_e64 v12, 0, -1, vcc
	v_cmp_le_u32_e32 vcc, s18, v7
	v_cndmask_b32_e64 v7, 0, -1, vcc
	v_cmp_eq_u32_e32 vcc, s19, v8
	v_cndmask_b32_e32 v7, v12, v7, vcc
	v_cmp_ne_u32_e32 vcc, 0, v7
	v_cndmask_b32_e64 v7, v13, v11, s[0:1]
	v_cndmask_b32_e32 v8, v9, v10, vcc
	v_cndmask_b32_e32 v7, v4, v7, vcc
.LBB0_4:                                ;   in Loop: Header=BB0_2 Depth=1
	s_andn2_saveexec_b64 s[0:1], s[20:21]
	s_cbranch_execz .LBB0_6
; %bb.5:                                ;   in Loop: Header=BB0_2 Depth=1
	v_cvt_f32_u32_e32 v4, s18
	s_sub_i32 s20, 0, s18
	v_rcp_iflag_f32_e32 v4, v4
	v_mul_f32_e32 v4, 0x4f7ffffe, v4
	v_cvt_u32_f32_e32 v4, v4
	v_mul_lo_u32 v7, s20, v4
	v_mul_hi_u32 v7, v4, v7
	v_add_u32_e32 v4, v4, v7
	v_mul_hi_u32 v4, v5, v4
	v_mul_lo_u32 v7, v4, s18
	v_add_u32_e32 v8, 1, v4
	v_sub_u32_e32 v7, v5, v7
	v_subrev_u32_e32 v9, s18, v7
	v_cmp_le_u32_e32 vcc, s18, v7
	v_cndmask_b32_e32 v7, v7, v9, vcc
	v_cndmask_b32_e32 v4, v4, v8, vcc
	v_add_u32_e32 v8, 1, v4
	v_cmp_le_u32_e32 vcc, s18, v7
	v_cndmask_b32_e32 v7, v4, v8, vcc
	v_mov_b32_e32 v8, v3
.LBB0_6:                                ;   in Loop: Header=BB0_2 Depth=1
	s_or_b64 exec, exec, s[0:1]
	v_mul_lo_u32 v4, v8, s18
	v_mul_lo_u32 v11, v7, s19
	v_mad_u64_u32 v[9:10], s[0:1], v7, s18, 0
	s_load_dwordx2 s[0:1], s[6:7], 0x0
	s_add_u32 s14, s14, 1
	v_add3_u32 v4, v10, v11, v4
	v_sub_co_u32_e32 v5, vcc, v5, v9
	v_subb_co_u32_e32 v4, vcc, v6, v4, vcc
	s_waitcnt lgkmcnt(0)
	v_mul_lo_u32 v4, s0, v4
	v_mul_lo_u32 v6, s1, v5
	v_mad_u64_u32 v[1:2], s[0:1], s0, v5, v[1:2]
	s_addc_u32 s15, s15, 0
	s_add_u32 s6, s6, 8
	v_add3_u32 v2, v6, v2, v4
	v_mov_b32_e32 v4, s10
	v_mov_b32_e32 v5, s11
	s_addc_u32 s7, s7, 0
	v_cmp_ge_u64_e32 vcc, s[14:15], v[4:5]
	s_add_u32 s16, s16, 8
	s_addc_u32 s17, s17, 0
	s_cbranch_vccnz .LBB0_8
; %bb.7:                                ;   in Loop: Header=BB0_2 Depth=1
	v_mov_b32_e32 v5, v7
	v_mov_b32_e32 v6, v8
	s_branch .LBB0_2
.LBB0_8:
	s_lshl_b64 s[0:1], s[10:11], 3
	s_add_u32 s0, s12, s0
	s_addc_u32 s1, s13, s1
	s_load_dwordx2 s[6:7], s[0:1], 0x0
	s_load_dwordx2 s[10:11], s[4:5], 0x20
	v_mov_b32_e32 v78, 0
	v_mov_b32_e32 v79, 0
                                        ; implicit-def: $vgpr54_vgpr55
                                        ; implicit-def: $vgpr50_vgpr51
                                        ; implicit-def: $vgpr42_vgpr43
                                        ; implicit-def: $vgpr22_vgpr23
                                        ; implicit-def: $vgpr14_vgpr15
                                        ; implicit-def: $vgpr10_vgpr11
                                        ; implicit-def: $vgpr18_vgpr19
                                        ; implicit-def: $vgpr26_vgpr27
                                        ; implicit-def: $vgpr34_vgpr35
                                        ; implicit-def: $vgpr46_vgpr47
                                        ; implicit-def: $vgpr38_vgpr39
	s_waitcnt lgkmcnt(0)
	v_mad_u64_u32 v[1:2], s[0:1], s6, v7, v[1:2]
	v_mul_lo_u32 v3, s6, v8
	v_mul_lo_u32 v4, s7, v7
	s_mov_b32 s0, 0x6906907
	v_mul_hi_u32 v5, v0, s0
	v_cmp_gt_u64_e32 vcc, s[10:11], v[7:8]
	v_add3_u32 v2, v4, v2, v3
	v_lshlrev_b64 v[76:77], 4, v[1:2]
	v_mul_u32_u24_e32 v3, 39, v5
	v_sub_u32_e32 v80, v0, v3
                                        ; implicit-def: $vgpr6_vgpr7
                                        ; implicit-def: $vgpr2_vgpr3
	s_and_saveexec_b64 s[4:5], vcc
	s_cbranch_execz .LBB0_10
; %bb.9:
	v_mov_b32_e32 v81, 0
	v_mov_b32_e32 v0, s3
	v_add_co_u32_e64 v2, s[0:1], s2, v76
	v_addc_co_u32_e64 v3, s[0:1], v0, v77, s[0:1]
	v_lshlrev_b64 v[0:1], 4, v[80:81]
	v_mov_b32_e32 v78, v80
	v_add_co_u32_e64 v29, s[0:1], v2, v0
	v_addc_co_u32_e64 v30, s[0:1], v3, v1, s[0:1]
	s_movk_i32 s0, 0x1000
	v_add_co_u32_e64 v56, s[0:1], s0, v29
	global_load_dwordx4 v[36:39], v[29:30], off
	global_load_dwordx4 v[44:47], v[29:30], off offset:624
	global_load_dwordx4 v[32:35], v[29:30], off offset:1248
	;; [unrolled: 1-line block ×3, first 2 shown]
	v_addc_co_u32_e64 v57, s[0:1], 0, v30, s[0:1]
	global_load_dwordx4 v[16:19], v[29:30], off offset:2496
	global_load_dwordx4 v[8:11], v[29:30], off offset:3120
	global_load_dwordx4 v[0:3], v[29:30], off offset:3744
	global_load_dwordx4 v[4:7], v[56:57], off offset:272
	global_load_dwordx4 v[12:15], v[56:57], off offset:896
	global_load_dwordx4 v[20:23], v[56:57], off offset:1520
	global_load_dwordx4 v[40:43], v[56:57], off offset:2144
	global_load_dwordx4 v[48:51], v[56:57], off offset:2768
	global_load_dwordx4 v[52:55], v[56:57], off offset:3392
	v_mov_b32_e32 v79, v81
.LBB0_10:
	s_or_b64 exec, exec, s[4:5]
	s_waitcnt vmcnt(11)
	v_add_f64 v[29:30], v[44:45], v[36:37]
	s_mov_b32 s0, 0xaaaaaaab
	v_mul_hi_u32 v31, v28, s0
	s_waitcnt vmcnt(0)
	v_add_f64 v[56:57], v[52:53], v[44:45]
	s_mov_b32 s10, 0xe00740e9
	s_mov_b32 s12, 0x1ea71119
	v_lshrrev_b32_e32 v31, 1, v31
	v_lshl_add_u32 v31, v31, 1, v31
	v_add_f64 v[29:30], v[32:33], v[29:30]
	v_sub_u32_e32 v28, v28, v31
	v_mul_u32_u24_e32 v87, 0x1fb, v28
	s_mov_b32 s4, 0xebaa3ed8
	s_mov_b32 s16, 0xb2365da1
	;; [unrolled: 1-line block ×5, first 2 shown]
	v_add_f64 v[29:30], v[24:25], v[29:30]
	s_mov_b32 s13, 0x3fe22d96
	s_mov_b32 s5, 0x3fbedb7d
	;; [unrolled: 1-line block ×5, first 2 shown]
	v_add_f64 v[58:59], v[46:47], -v[54:55]
	v_add_f64 v[60:61], v[48:49], v[32:33]
	v_add_f64 v[29:30], v[16:17], v[29:30]
	v_mul_f64 v[64:65], v[56:57], s[10:11]
	v_mul_f64 v[66:67], v[56:57], s[12:13]
	;; [unrolled: 1-line block ×4, first 2 shown]
	s_mov_b32 s18, 0x4267c47c
	s_mov_b32 s14, 0x42a4c3d2
	s_mov_b32 s6, 0x66966769
	v_add_f64 v[29:30], v[8:9], v[29:30]
	s_mov_b32 s40, 0x2ef20147
	s_mov_b32 s38, 0x24c2f84
	s_mov_b32 s34, 0x4bc48dbf
	s_mov_b32 s19, 0x3fddbe06
	s_mov_b32 s43, 0xbfddbe06
	s_mov_b32 s15, 0x3fea55e2
	s_mov_b32 s31, 0xbfea55e2
	v_add_f64 v[29:30], v[0:1], v[29:30]
	s_mov_b32 s7, 0x3fefc445
	s_mov_b32 s37, 0xbfefc445
	s_mov_b32 s41, 0x3fedeba7
	s_mov_b32 s21, 0xbfedeba7
	;; [unrolled: 8-line block ×3, first 2 shown]
	s_mov_b32 s20, s40
	s_mov_b32 s24, s38
	;; [unrolled: 1-line block ×3, first 2 shown]
	v_add_f64 v[28:29], v[12:13], v[29:30]
	v_mul_f64 v[30:31], v[56:57], s[16:17]
	v_mul_f64 v[56:57], v[56:57], s[26:27]
	v_add_f64 v[62:63], v[34:35], -v[50:51]
	v_mul_f64 v[72:73], v[60:61], s[12:13]
	v_mul_f64 v[74:75], v[60:61], s[16:17]
	v_fma_f64 v[81:82], v[58:59], s[18:19], v[64:65]
	v_fma_f64 v[64:65], v[58:59], s[42:43], v[64:65]
	v_add_f64 v[28:29], v[20:21], v[28:29]
	v_fma_f64 v[83:84], v[58:59], s[14:15], v[66:67]
	v_fma_f64 v[66:67], v[58:59], s[30:31], v[66:67]
	;; [unrolled: 1-line block ×7, first 2 shown]
	v_add_f64 v[28:29], v[40:41], v[28:29]
	v_fma_f64 v[70:71], v[58:59], s[24:25], v[70:71]
	v_fma_f64 v[92:93], v[58:59], s[34:35], v[56:57]
	v_fma_f64 v[56:57], v[58:59], s[28:29], v[56:57]
	v_fma_f64 v[58:59], v[62:63], s[14:15], v[72:73]
	v_add_f64 v[81:82], v[36:37], v[81:82]
	v_add_f64 v[64:65], v[36:37], v[64:65]
	;; [unrolled: 1-line block ×12, first 2 shown]
	v_mul_f64 v[28:29], v[60:61], s[26:27]
	v_fma_f64 v[72:73], v[62:63], s[30:31], v[72:73]
	v_fma_f64 v[96:97], v[62:63], s[40:41], v[74:75]
	v_add_f64 v[92:93], v[36:37], v[92:93]
	v_add_f64 v[36:37], v[36:37], v[56:57]
	v_fma_f64 v[56:57], v[62:63], s[20:21], v[74:75]
	v_mul_f64 v[74:75], v[60:61], s[22:23]
	v_add_f64 v[58:59], v[58:59], v[81:82]
	v_fma_f64 v[81:82], v[62:63], s[34:35], v[28:29]
	v_add_f64 v[64:65], v[72:73], v[64:65]
	v_add_f64 v[72:73], v[96:97], v[83:84]
	v_fma_f64 v[28:29], v[62:63], s[28:29], v[28:29]
	v_mul_f64 v[83:84], v[60:61], s[4:5]
	v_add_f64 v[56:57], v[56:57], v[66:67]
	v_add_f64 v[66:67], v[40:41], v[24:25]
	v_fma_f64 v[96:97], v[62:63], s[24:25], v[74:75]
	v_fma_f64 v[74:75], v[62:63], s[38:39], v[74:75]
	v_mul_f64 v[60:61], v[60:61], s[10:11]
	v_add_f64 v[81:82], v[81:82], v[85:86]
	v_add_f64 v[28:29], v[28:29], v[68:69]
	v_fma_f64 v[68:69], v[62:63], s[36:37], v[83:84]
	v_add_f64 v[85:86], v[26:27], -v[42:43]
	v_mul_f64 v[98:99], v[66:67], s[4:5]
	v_add_f64 v[88:89], v[96:97], v[88:89]
	v_fma_f64 v[83:84], v[62:63], s[6:7], v[83:84]
	v_add_f64 v[30:31], v[74:75], v[30:31]
	v_fma_f64 v[74:75], v[62:63], s[42:43], v[60:61]
	v_mul_f64 v[96:97], v[66:67], s[26:27]
	v_fma_f64 v[60:61], v[62:63], s[18:19], v[60:61]
	v_add_f64 v[62:63], v[68:69], v[90:91]
	v_fma_f64 v[68:69], v[85:86], s[6:7], v[98:99]
	v_mul_f64 v[90:91], v[66:67], s[16:17]
	v_add_f64 v[70:71], v[83:84], v[70:71]
	v_fma_f64 v[83:84], v[85:86], s[36:37], v[98:99]
	v_add_f64 v[74:75], v[74:75], v[92:93]
	v_fma_f64 v[92:93], v[85:86], s[34:35], v[96:97]
	;; [unrolled: 2-line block ×4, first 2 shown]
	v_mul_f64 v[96:97], v[66:67], s[10:11]
	v_add_f64 v[64:65], v[83:84], v[64:65]
	v_fma_f64 v[83:84], v[85:86], s[40:41], v[90:91]
	v_mul_f64 v[90:91], v[66:67], s[12:13]
	v_add_f64 v[72:73], v[92:93], v[72:73]
	v_add_f64 v[56:57], v[60:61], v[56:57]
	;; [unrolled: 1-line block ×4, first 2 shown]
	v_fma_f64 v[81:82], v[85:86], s[42:43], v[96:97]
	v_fma_f64 v[92:93], v[85:86], s[18:19], v[96:97]
	v_mul_f64 v[66:67], v[66:67], s[22:23]
	v_add_f64 v[28:29], v[83:84], v[28:29]
	v_fma_f64 v[83:84], v[85:86], s[14:15], v[90:91]
	v_add_f64 v[96:97], v[18:19], -v[22:23]
	v_mul_f64 v[98:99], v[60:61], s[16:17]
	v_fma_f64 v[90:91], v[85:86], s[30:31], v[90:91]
	v_add_f64 v[81:82], v[81:82], v[88:89]
	v_add_f64 v[30:31], v[92:93], v[30:31]
	v_mul_f64 v[88:89], v[60:61], s[22:23]
	v_fma_f64 v[92:93], v[85:86], s[38:39], v[66:67]
	v_fma_f64 v[66:67], v[85:86], s[24:25], v[66:67]
	v_add_f64 v[62:63], v[83:84], v[62:63]
	v_fma_f64 v[83:84], v[96:97], s[40:41], v[98:99]
	v_add_f64 v[70:71], v[90:91], v[70:71]
	v_mul_f64 v[85:86], v[60:61], s[10:11]
	v_fma_f64 v[90:91], v[96:97], s[20:21], v[98:99]
	v_fma_f64 v[98:99], v[96:97], s[24:25], v[88:89]
	v_add_f64 v[74:75], v[92:93], v[74:75]
	v_add_f64 v[36:37], v[66:67], v[36:37]
	v_fma_f64 v[66:67], v[96:97], s[38:39], v[88:89]
	v_add_f64 v[58:59], v[83:84], v[58:59]
	v_mul_f64 v[83:84], v[60:61], s[4:5]
	v_fma_f64 v[88:89], v[96:97], s[42:43], v[85:86]
	v_add_f64 v[64:65], v[90:91], v[64:65]
	v_fma_f64 v[85:86], v[96:97], s[18:19], v[85:86]
	v_mul_f64 v[90:91], v[60:61], s[26:27]
	v_mul_f64 v[60:61], v[60:61], s[12:13]
	v_add_f64 v[56:57], v[66:67], v[56:57]
	v_add_f64 v[66:67], v[12:13], v[8:9]
	v_fma_f64 v[92:93], v[96:97], s[6:7], v[83:84]
	v_fma_f64 v[83:84], v[96:97], s[36:37], v[83:84]
	v_add_f64 v[72:73], v[98:99], v[72:73]
	v_add_f64 v[68:69], v[88:89], v[68:69]
	;; [unrolled: 1-line block ×3, first 2 shown]
	v_fma_f64 v[85:86], v[96:97], s[28:29], v[90:91]
	v_add_f64 v[88:89], v[10:11], -v[14:15]
	v_mul_f64 v[98:99], v[66:67], s[22:23]
	v_add_f64 v[81:82], v[92:93], v[81:82]
	v_fma_f64 v[90:91], v[96:97], s[34:35], v[90:91]
	v_add_f64 v[30:31], v[83:84], v[30:31]
	v_fma_f64 v[83:84], v[96:97], s[30:31], v[60:61]
	v_mul_f64 v[92:93], v[66:67], s[4:5]
	v_fma_f64 v[60:61], v[96:97], s[14:15], v[60:61]
	v_add_f64 v[62:63], v[85:86], v[62:63]
	v_fma_f64 v[85:86], v[88:89], s[38:39], v[98:99]
	v_mul_f64 v[96:97], v[66:67], s[12:13]
	v_add_f64 v[70:71], v[90:91], v[70:71]
	v_fma_f64 v[90:91], v[88:89], s[24:25], v[98:99]
	v_add_f64 v[74:75], v[83:84], v[74:75]
	v_fma_f64 v[83:84], v[88:89], s[36:37], v[92:93]
	;; [unrolled: 2-line block ×4, first 2 shown]
	v_mul_f64 v[92:93], v[66:67], s[26:27]
	v_add_f64 v[64:65], v[90:91], v[64:65]
	v_fma_f64 v[90:91], v[88:89], s[30:31], v[96:97]
	v_add_f64 v[72:73], v[83:84], v[72:73]
	v_mul_f64 v[83:84], v[66:67], s[10:11]
	v_add_f64 v[56:57], v[60:61], v[56:57]
	v_add_f64 v[60:61], v[4:5], v[0:1]
	;; [unrolled: 1-line block ×3, first 2 shown]
	v_fma_f64 v[85:86], v[88:89], s[28:29], v[92:93]
	v_mul_f64 v[66:67], v[66:67], s[16:17]
	v_add_f64 v[90:91], v[90:91], v[28:29]
	v_fma_f64 v[28:29], v[88:89], s[34:35], v[92:93]
	v_fma_f64 v[92:93], v[88:89], s[42:43], v[83:84]
	v_add_f64 v[96:97], v[2:3], -v[6:7]
	v_mul_f64 v[98:99], v[60:61], s[26:27]
	v_fma_f64 v[83:84], v[88:89], s[18:19], v[83:84]
	v_add_f64 v[81:82], v[85:86], v[81:82]
	v_fma_f64 v[85:86], v[88:89], s[40:41], v[66:67]
	v_fma_f64 v[66:67], v[88:89], s[20:21], v[66:67]
	v_mul_f64 v[88:89], v[60:61], s[10:11]
	v_add_f64 v[30:31], v[28:29], v[30:31]
	v_add_f64 v[62:63], v[92:93], v[62:63]
	v_fma_f64 v[28:29], v[96:97], s[34:35], v[98:99]
	v_add_f64 v[70:71], v[83:84], v[70:71]
	v_fma_f64 v[83:84], v[96:97], s[28:29], v[98:99]
	v_add_f64 v[74:75], v[85:86], v[74:75]
	v_add_f64 v[36:37], v[66:67], v[36:37]
	v_fma_f64 v[66:67], v[96:97], s[42:43], v[88:89]
	v_fma_f64 v[85:86], v[96:97], s[18:19], v[88:89]
	v_mul_f64 v[88:89], v[60:61], s[22:23]
	v_add_f64 v[58:59], v[28:29], v[58:59]
	v_mul_f64 v[92:93], v[60:61], s[12:13]
	v_add_f64 v[28:29], v[83:84], v[64:65]
	v_mul_f64 v[64:65], v[60:61], s[16:17]
	v_mul_f64 v[60:61], v[60:61], s[4:5]
	v_add_f64 v[66:67], v[66:67], v[72:73]
	v_add_f64 v[56:57], v[85:86], v[56:57]
	v_fma_f64 v[72:73], v[96:97], s[38:39], v[88:89]
	v_fma_f64 v[83:84], v[96:97], s[24:25], v[88:89]
	;; [unrolled: 1-line block ×8, first 2 shown]
	v_add_f64 v[68:69], v[72:73], v[68:69]
	s_movk_i32 s0, 0x68
	v_add_f64 v[81:82], v[85:86], v[81:82]
	v_add_f64 v[30:31], v[88:89], v[30:31]
	;; [unrolled: 1-line block ×6, first 2 shown]
	v_lshl_add_u32 v64, v87, 3, 0
	v_add_f64 v[72:73], v[83:84], v[90:91]
	v_mad_u32_u24 v90, v80, s0, v64
	s_movk_i32 s0, 0xffa0
	v_mad_i32_i24 v89, v80, s0, v90
	v_add_u32_e32 v91, 0x800, v89
	ds_write2_b64 v90, v[94:95], v[58:59] offset1:1
	ds_write2_b64 v90, v[66:67], v[68:69] offset0:2 offset1:3
	ds_write2_b64 v90, v[81:82], v[62:63] offset0:4 offset1:5
	;; [unrolled: 1-line block ×5, first 2 shown]
	ds_write_b64 v90, v[28:29] offset:96
	s_waitcnt lgkmcnt(0)
	s_barrier
	v_lshl_add_u32 v88, v80, 3, v64
	ds_read2_b64 v[56:59], v89 offset0:117 offset1:169
	ds_read2_b64 v[64:67], v91 offset0:30 offset1:82
	;; [unrolled: 1-line block ×5, first 2 shown]
	ds_read_b64 v[36:37], v88
	ds_read_b64 v[81:82], v89 offset:3640
	v_cmp_gt_u32_e64 s[0:1], 13, v80
                                        ; implicit-def: $vgpr83_vgpr84
	s_and_saveexec_b64 s[44:45], s[0:1]
	s_cbranch_execz .LBB0_12
; %bb.11:
	v_add_u32_e32 v28, 0x400, v89
	ds_read2_b64 v[28:31], v28 offset0:28 offset1:197
	ds_read_b64 v[83:84], v89 offset:3952
.LBB0_12:
	s_or_b64 exec, exec, s[44:45]
	v_add_f64 v[85:86], v[46:47], v[38:39]
	v_add_f64 v[44:45], v[44:45], -v[52:53]
	v_add_f64 v[46:47], v[54:55], v[46:47]
	v_add_f64 v[32:33], v[32:33], -v[48:49]
	v_add_f64 v[24:25], v[24:25], -v[40:41]
	;; [unrolled: 1-line block ×5, first 2 shown]
	v_add_f64 v[85:86], v[34:35], v[85:86]
	v_mul_f64 v[52:53], v[44:45], s[42:43]
	v_mul_f64 v[92:93], v[44:45], s[30:31]
	;; [unrolled: 1-line block ×6, first 2 shown]
	v_add_f64 v[34:35], v[50:51], v[34:35]
	v_add_f64 v[85:86], v[26:27], v[85:86]
	v_mul_f64 v[48:49], v[32:33], s[20:21]
	v_fma_f64 v[94:95], v[46:47], s[12:13], v[92:93]
	v_fma_f64 v[92:93], v[46:47], s[12:13], -v[92:93]
	v_fma_f64 v[98:99], v[46:47], s[4:5], v[96:97]
	v_fma_f64 v[96:97], v[46:47], s[4:5], -v[96:97]
	;; [unrolled: 2-line block ×3, first 2 shown]
	v_add_f64 v[85:86], v[18:19], v[85:86]
	v_fma_f64 v[106:107], v[46:47], s[22:23], v[104:105]
	v_fma_f64 v[104:105], v[46:47], s[22:23], -v[104:105]
	v_fma_f64 v[108:109], v[46:47], s[26:27], v[44:45]
	v_fma_f64 v[44:45], v[46:47], s[26:27], -v[44:45]
	v_add_f64 v[94:95], v[38:39], v[94:95]
	v_add_f64 v[92:93], v[38:39], v[92:93]
	;; [unrolled: 1-line block ×12, first 2 shown]
	v_mul_f64 v[40:41], v[24:25], s[28:29]
	v_add_f64 v[18:19], v[22:23], v[18:19]
	v_mul_f64 v[20:21], v[16:17], s[20:21]
	v_add_f64 v[10:11], v[14:15], v[10:11]
	v_mul_f64 v[12:13], v[8:9], s[24:25]
	v_add_f64 v[2:3], v[6:7], v[2:3]
	v_mul_f64 v[4:5], v[0:1], s[28:29]
	v_add_f64 v[85:86], v[6:7], v[85:86]
	s_waitcnt lgkmcnt(0)
	s_barrier
	v_fma_f64 v[6:7], v[2:3], s[26:27], v[4:5]
	v_add_f64 v[85:86], v[14:15], v[85:86]
	v_fma_f64 v[14:15], v[10:11], s[22:23], v[12:13]
	v_fma_f64 v[12:13], v[10:11], s[22:23], -v[12:13]
	v_fma_f64 v[4:5], v[2:3], s[26:27], -v[4:5]
	v_add_f64 v[85:86], v[22:23], v[85:86]
	v_fma_f64 v[22:23], v[18:19], s[16:17], v[20:21]
	v_fma_f64 v[20:21], v[18:19], s[16:17], -v[20:21]
	v_add_f64 v[85:86], v[42:43], v[85:86]
	v_fma_f64 v[42:43], v[26:27], s[26:27], v[40:41]
	;; [unrolled: 3-line block ×4, first 2 shown]
	v_fma_f64 v[52:53], v[46:47], s[10:11], -v[52:53]
	v_add_f64 v[48:49], v[48:49], v[92:93]
	v_mul_f64 v[92:93], v[32:33], s[38:39]
	v_add_f64 v[50:51], v[50:51], v[94:95]
	v_add_f64 v[54:55], v[38:39], v[54:55]
	;; [unrolled: 1-line block ×4, first 2 shown]
	v_mul_f64 v[44:45], v[32:33], s[30:31]
	v_fma_f64 v[94:95], v[34:35], s[22:23], v[92:93]
	v_fma_f64 v[92:93], v[34:35], s[22:23], -v[92:93]
	v_add_f64 v[40:41], v[40:41], v[48:49]
	v_mul_f64 v[48:49], v[24:25], s[18:19]
	v_add_f64 v[42:43], v[42:43], v[50:51]
	v_fma_f64 v[46:47], v[34:35], s[12:13], v[44:45]
	v_fma_f64 v[44:45], v[34:35], s[12:13], -v[44:45]
	v_add_f64 v[92:93], v[92:93], v[100:101]
	v_add_f64 v[94:95], v[94:95], v[102:103]
	v_fma_f64 v[50:51], v[26:27], s[10:11], v[48:49]
	v_fma_f64 v[48:49], v[26:27], s[10:11], -v[48:49]
	v_add_f64 v[46:47], v[46:47], v[54:55]
	v_add_f64 v[44:45], v[44:45], v[52:53]
	v_mul_f64 v[52:53], v[32:33], s[28:29]
	v_add_f64 v[50:51], v[50:51], v[94:95]
	v_add_f64 v[48:49], v[48:49], v[92:93]
	v_fma_f64 v[54:55], v[34:35], s[26:27], v[52:53]
	v_fma_f64 v[52:53], v[34:35], s[26:27], -v[52:53]
	v_add_f64 v[54:55], v[54:55], v[98:99]
	v_add_f64 v[52:53], v[52:53], v[96:97]
	v_mul_f64 v[96:97], v[32:33], s[6:7]
	v_mul_f64 v[32:33], v[32:33], s[18:19]
	v_fma_f64 v[98:99], v[34:35], s[4:5], v[96:97]
	v_fma_f64 v[96:97], v[34:35], s[4:5], -v[96:97]
	v_fma_f64 v[100:101], v[34:35], s[10:11], v[32:33]
	v_fma_f64 v[32:33], v[34:35], s[10:11], -v[32:33]
	v_mul_f64 v[34:35], v[24:25], s[36:37]
	v_add_f64 v[98:99], v[98:99], v[106:107]
	v_add_f64 v[96:97], v[96:97], v[104:105]
	;; [unrolled: 1-line block ×4, first 2 shown]
	v_fma_f64 v[38:39], v[26:27], s[4:5], v[34:35]
	v_fma_f64 v[34:35], v[26:27], s[4:5], -v[34:35]
	v_add_f64 v[38:39], v[38:39], v[46:47]
	v_add_f64 v[34:35], v[34:35], v[44:45]
	v_mul_f64 v[44:45], v[24:25], s[40:41]
	v_add_f64 v[22:23], v[22:23], v[38:39]
	v_add_f64 v[20:21], v[20:21], v[34:35]
	v_fma_f64 v[46:47], v[26:27], s[16:17], v[44:45]
	v_fma_f64 v[44:45], v[26:27], s[16:17], -v[44:45]
	v_mul_f64 v[34:35], v[16:17], s[18:19]
	v_add_f64 v[14:15], v[14:15], v[22:23]
	v_add_f64 v[12:13], v[12:13], v[20:21]
	;; [unrolled: 1-line block ×4, first 2 shown]
	v_mul_f64 v[52:53], v[24:25], s[30:31]
	v_mul_f64 v[24:25], v[24:25], s[24:25]
	v_fma_f64 v[38:39], v[18:19], s[10:11], v[34:35]
	v_fma_f64 v[34:35], v[18:19], s[10:11], -v[34:35]
	v_add_f64 v[6:7], v[6:7], v[14:15]
	v_fma_f64 v[54:55], v[26:27], s[12:13], v[52:53]
	v_fma_f64 v[52:53], v[26:27], s[12:13], -v[52:53]
	v_fma_f64 v[92:93], v[26:27], s[22:23], v[24:25]
	v_fma_f64 v[24:25], v[26:27], s[22:23], -v[24:25]
	v_mul_f64 v[26:27], v[16:17], s[38:39]
	v_add_f64 v[34:35], v[34:35], v[44:45]
	v_mul_f64 v[44:45], v[16:17], s[34:35]
	v_add_f64 v[38:39], v[38:39], v[46:47]
	v_add_f64 v[54:55], v[54:55], v[98:99]
	;; [unrolled: 1-line block ×5, first 2 shown]
	v_fma_f64 v[32:33], v[18:19], s[22:23], v[26:27]
	v_fma_f64 v[26:27], v[18:19], s[22:23], -v[26:27]
	v_fma_f64 v[46:47], v[18:19], s[26:27], v[44:45]
	v_fma_f64 v[44:45], v[18:19], s[26:27], -v[44:45]
	v_add_f64 v[32:33], v[32:33], v[42:43]
	v_add_f64 v[26:27], v[26:27], v[40:41]
	v_mul_f64 v[40:41], v[16:17], s[36:37]
	v_mul_f64 v[16:17], v[16:17], s[14:15]
	v_add_f64 v[44:45], v[44:45], v[52:53]
	v_add_f64 v[46:47], v[46:47], v[54:55]
	v_fma_f64 v[42:43], v[18:19], s[4:5], v[40:41]
	v_fma_f64 v[40:41], v[18:19], s[4:5], -v[40:41]
	v_add_f64 v[42:43], v[42:43], v[50:51]
	v_add_f64 v[40:41], v[40:41], v[48:49]
	v_fma_f64 v[48:49], v[18:19], s[12:13], v[16:17]
	v_fma_f64 v[16:17], v[18:19], s[12:13], -v[16:17]
	v_mul_f64 v[18:19], v[8:9], s[6:7]
	v_add_f64 v[48:49], v[48:49], v[92:93]
	v_add_f64 v[16:17], v[16:17], v[24:25]
	v_fma_f64 v[20:21], v[10:11], s[4:5], v[18:19]
	v_fma_f64 v[18:19], v[10:11], s[4:5], -v[18:19]
	v_add_f64 v[22:23], v[20:21], v[32:33]
	v_mul_f64 v[20:21], v[8:9], s[30:31]
	v_add_f64 v[18:19], v[18:19], v[26:27]
	v_fma_f64 v[24:25], v[10:11], s[12:13], v[20:21]
	v_fma_f64 v[20:21], v[10:11], s[12:13], -v[20:21]
	v_add_f64 v[24:25], v[24:25], v[38:39]
	v_add_f64 v[26:27], v[20:21], v[34:35]
	v_mul_f64 v[20:21], v[8:9], s[34:35]
	v_fma_f64 v[32:33], v[10:11], s[26:27], v[20:21]
	v_fma_f64 v[20:21], v[10:11], s[26:27], -v[20:21]
	v_add_f64 v[32:33], v[32:33], v[42:43]
	v_add_f64 v[34:35], v[20:21], v[40:41]
	v_mul_f64 v[20:21], v[8:9], s[18:19]
	v_mul_f64 v[8:9], v[8:9], s[20:21]
	v_fma_f64 v[38:39], v[10:11], s[10:11], v[20:21]
	v_fma_f64 v[20:21], v[10:11], s[10:11], -v[20:21]
	v_add_f64 v[38:39], v[38:39], v[46:47]
	v_add_f64 v[40:41], v[20:21], v[44:45]
	v_fma_f64 v[20:21], v[10:11], s[16:17], v[8:9]
	v_fma_f64 v[8:9], v[10:11], s[16:17], -v[8:9]
	v_add_f64 v[42:43], v[20:21], v[48:49]
	v_add_f64 v[20:21], v[4:5], v[12:13]
	v_mul_f64 v[4:5], v[0:1], s[18:19]
	v_mul_f64 v[12:13], v[0:1], s[24:25]
	v_add_f64 v[8:9], v[8:9], v[16:17]
	v_mul_f64 v[16:17], v[0:1], s[14:15]
	v_fma_f64 v[10:11], v[2:3], s[10:11], v[4:5]
	v_fma_f64 v[4:5], v[2:3], s[10:11], -v[4:5]
	v_fma_f64 v[14:15], v[2:3], s[22:23], v[12:13]
	v_fma_f64 v[12:13], v[2:3], s[22:23], -v[12:13]
	v_add_f64 v[10:11], v[10:11], v[22:23]
	v_mul_f64 v[22:23], v[0:1], s[20:21]
	v_mul_f64 v[0:1], v[0:1], s[6:7]
	v_add_f64 v[4:5], v[4:5], v[18:19]
	v_add_f64 v[14:15], v[14:15], v[24:25]
	v_fma_f64 v[18:19], v[2:3], s[12:13], v[16:17]
	v_add_f64 v[12:13], v[12:13], v[26:27]
	v_fma_f64 v[16:17], v[2:3], s[12:13], -v[16:17]
	v_fma_f64 v[24:25], v[2:3], s[16:17], v[22:23]
	v_fma_f64 v[26:27], v[2:3], s[4:5], v[0:1]
	v_fma_f64 v[0:1], v[2:3], s[4:5], -v[0:1]
	v_fma_f64 v[22:23], v[2:3], s[16:17], -v[22:23]
	v_add_f64 v[18:19], v[18:19], v[32:33]
                                        ; implicit-def: $vgpr32_vgpr33
	v_add_f64 v[16:17], v[16:17], v[34:35]
	v_add_f64 v[24:25], v[24:25], v[38:39]
	;; [unrolled: 1-line block ×5, first 2 shown]
	ds_write2_b64 v90, v[85:86], v[6:7] offset1:1
	ds_write2_b64 v90, v[10:11], v[14:15] offset0:2 offset1:3
	ds_write2_b64 v90, v[18:19], v[24:25] offset0:4 offset1:5
	;; [unrolled: 1-line block ×5, first 2 shown]
	ds_write_b64 v90, v[20:21] offset:96
	s_waitcnt lgkmcnt(0)
	s_barrier
	ds_read_b64 v[24:25], v88
	ds_read2_b64 v[0:3], v89 offset0:117 offset1:169
	ds_read2_b64 v[8:11], v91 offset0:30 offset1:82
	;; [unrolled: 1-line block ×5, first 2 shown]
	ds_read_b64 v[26:27], v89 offset:3640
	s_and_saveexec_b64 s[4:5], s[0:1]
	s_cbranch_execz .LBB0_14
; %bb.13:
	v_add_u32_e32 v20, 0x400, v89
	ds_read2_b64 v[20:23], v20 offset0:28 offset1:197
	ds_read_b64 v[32:33], v89 offset:3952
.LBB0_14:
	s_or_b64 exec, exec, s[4:5]
	s_movk_i32 s4, 0x4f
	v_mul_lo_u16_sdwa v34, v80, s4 dst_sel:DWORD dst_unused:UNUSED_PAD src0_sel:BYTE_0 src1_sel:DWORD
	v_lshrrev_b16_e32 v34, 10, v34
	v_mul_lo_u16_e32 v35, 13, v34
	v_sub_u16_e32 v35, v80, v35
	v_mov_b32_e32 v54, 5
	v_lshlrev_b32_sdwa v46, v54, v35 dst_sel:DWORD dst_unused:UNUSED_PAD src0_sel:DWORD src1_sel:BYTE_0
	global_load_dwordx4 v[38:41], v46, s[8:9] offset:16
	global_load_dwordx4 v[42:45], v46, s[8:9]
	v_add_u16_e32 v46, 39, v80
	v_mul_lo_u16_sdwa v47, v46, s4 dst_sel:DWORD dst_unused:UNUSED_PAD src0_sel:BYTE_0 src1_sel:DWORD
	v_lshrrev_b16_e32 v55, 10, v47
	v_mul_lo_u16_e32 v47, 13, v55
	v_sub_u16_e32 v90, v46, v47
	v_lshlrev_b32_sdwa v50, v54, v90 dst_sel:DWORD dst_unused:UNUSED_PAD src0_sel:DWORD src1_sel:BYTE_0
	global_load_dwordx4 v[92:95], v50, s[8:9] offset:16
	global_load_dwordx4 v[46:49], v50, s[8:9]
	v_add_u16_e32 v50, 0x4e, v80
	v_mul_lo_u16_sdwa v51, v50, s4 dst_sel:DWORD dst_unused:UNUSED_PAD src0_sel:BYTE_0 src1_sel:DWORD
	v_lshrrev_b16_e32 v136, 10, v51
	v_mul_lo_u16_e32 v51, 13, v136
	v_sub_u16_e32 v137, v50, v51
	;; [unrolled: 8-line block ×4, first 2 shown]
	v_lshlrev_b32_sdwa v54, v54, v85 dst_sel:DWORD dst_unused:UNUSED_PAD src0_sel:DWORD src1_sel:BYTE_0
	global_load_dwordx4 v[108:111], v54, s[8:9]
	global_load_dwordx4 v[112:115], v54, s[8:9] offset:16
	s_movk_i32 s10, 0x138
	v_mov_b32_e32 v91, 3
	v_lshlrev_b32_e32 v86, 3, v87
	v_mad_u32_u24 v34, v34, s10, 0
	v_mad_u32_u24 v54, v55, s10, 0
	v_lshlrev_b32_sdwa v35, v91, v35 dst_sel:DWORD dst_unused:UNUSED_PAD src0_sel:DWORD src1_sel:BYTE_0
	v_lshlrev_b32_sdwa v55, v91, v90 dst_sel:DWORD dst_unused:UNUSED_PAD src0_sel:DWORD src1_sel:BYTE_0
	v_add3_u32 v90, v34, v35, v86
	v_add3_u32 v87, v54, v55, v86
	s_mov_b32 s4, 0xe8584caa
	s_mov_b32 s5, 0x3febb67a
	;; [unrolled: 1-line block ×4, first 2 shown]
	s_waitcnt vmcnt(0) lgkmcnt(0)
	s_barrier
	v_mul_f64 v[118:119], v[10:11], v[40:41]
	v_mul_f64 v[34:35], v[2:3], v[44:45]
	;; [unrolled: 1-line block ×12, first 2 shown]
	v_fma_f64 v[44:45], v[72:73], v[46:47], -v[54:55]
	v_fma_f64 v[46:47], v[16:17], v[46:47], v[48:49]
	v_fma_f64 v[52:53], v[66:67], v[38:39], -v[118:119]
	v_mul_f64 v[130:131], v[26:27], v[102:103]
	v_mul_f64 v[128:129], v[8:9], v[106:107]
	v_fma_f64 v[16:17], v[74:75], v[50:51], -v[120:121]
	v_fma_f64 v[40:41], v[18:19], v[50:51], v[40:41]
	v_fma_f64 v[50:51], v[58:59], v[42:43], -v[34:35]
	v_fma_f64 v[48:49], v[68:69], v[92:93], -v[124:125]
	v_mul_f64 v[106:107], v[64:65], v[106:107]
	v_mul_f64 v[102:103], v[81:82], v[102:103]
	v_fma_f64 v[54:55], v[2:3], v[42:43], v[116:117]
	v_fma_f64 v[18:19], v[10:11], v[38:39], v[122:123]
	;; [unrolled: 1-line block ×3, first 2 shown]
	v_fma_f64 v[38:39], v[70:71], v[96:97], -v[126:127]
	v_fma_f64 v[2:3], v[14:15], v[96:97], v[98:99]
	v_fma_f64 v[12:13], v[64:65], v[104:105], -v[128:129]
	v_fma_f64 v[14:15], v[81:82], v[100:101], -v[130:131]
	v_mul_f64 v[132:133], v[22:23], v[110:111]
	v_mul_f64 v[110:111], v[30:31], v[110:111]
	;; [unrolled: 1-line block ×4, first 2 shown]
	v_add_f64 v[58:59], v[50:51], v[52:53]
	v_add_f64 v[68:69], v[44:45], v[48:49]
	v_fma_f64 v[42:43], v[8:9], v[104:105], v[106:107]
	v_fma_f64 v[8:9], v[26:27], v[100:101], v[102:103]
	v_add_f64 v[74:75], v[16:17], v[38:39]
	v_add_f64 v[92:93], v[12:13], v[14:15]
	v_fma_f64 v[34:35], v[22:23], v[108:109], v[110:111]
	v_fma_f64 v[22:23], v[32:33], v[112:113], v[114:115]
	v_add_f64 v[32:33], v[36:37], v[50:51]
	v_add_f64 v[64:65], v[54:55], -v[18:19]
	v_add_f64 v[66:67], v[60:61], v[44:45]
	v_add_f64 v[72:73], v[62:63], v[16:17]
	v_fma_f64 v[36:37], v[58:59], -0.5, v[36:37]
	v_add_f64 v[70:71], v[46:47], -v[10:11]
	v_fma_f64 v[58:59], v[68:69], -0.5, v[60:61]
	v_fma_f64 v[26:27], v[30:31], v[108:109], -v[132:133]
	v_fma_f64 v[30:31], v[83:84], v[112:113], -v[134:135]
	v_add_f64 v[81:82], v[40:41], -v[2:3]
	v_add_f64 v[83:84], v[56:57], v[12:13]
	v_add_f64 v[94:95], v[42:43], -v[8:9]
	v_fma_f64 v[62:63], v[74:75], -0.5, v[62:63]
	v_fma_f64 v[56:57], v[92:93], -0.5, v[56:57]
	v_add_f64 v[32:33], v[32:33], v[52:53]
	v_add_f64 v[60:61], v[66:67], v[48:49]
	;; [unrolled: 1-line block ×3, first 2 shown]
	v_fma_f64 v[72:73], v[64:65], s[4:5], v[36:37]
	v_fma_f64 v[36:37], v[64:65], s[6:7], v[36:37]
	;; [unrolled: 1-line block ×3, first 2 shown]
	v_add_f64 v[68:69], v[83:84], v[14:15]
	v_fma_f64 v[58:59], v[70:71], s[6:7], v[58:59]
	v_fma_f64 v[70:71], v[81:82], s[4:5], v[62:63]
	;; [unrolled: 1-line block ×5, first 2 shown]
	ds_write2_b64 v90, v[32:33], v[72:73] offset1:13
	ds_write_b64 v90, v[36:37] offset:208
	ds_write2_b64 v87, v[60:61], v[64:65] offset1:13
	ds_write_b64 v87, v[58:59] offset:208
	v_mad_u32_u24 v32, v136, s10, 0
	v_lshlrev_b32_sdwa v33, v91, v137 dst_sel:DWORD dst_unused:UNUSED_PAD src0_sel:DWORD src1_sel:BYTE_0
	v_add3_u32 v32, v32, v33, v86
	v_mad_u32_u24 v33, v138, s10, 0
	v_lshlrev_b32_sdwa v36, v91, v139 dst_sel:DWORD dst_unused:UNUSED_PAD src0_sel:DWORD src1_sel:BYTE_0
	v_add3_u32 v33, v33, v36, v86
	ds_write2_b64 v32, v[66:67], v[70:71] offset1:13
	ds_write_b64 v32, v[62:63] offset:208
	ds_write2_b64 v33, v[68:69], v[74:75] offset1:13
	ds_write_b64 v33, v[56:57] offset:208
	s_and_saveexec_b64 s[10:11], s[0:1]
	s_cbranch_execz .LBB0_16
; %bb.15:
	v_add_f64 v[36:37], v[26:27], v[30:31]
	v_add_f64 v[56:57], v[34:35], -v[22:23]
	v_add_f64 v[58:59], v[28:29], v[26:27]
	v_fma_f64 v[28:29], v[36:37], -0.5, v[28:29]
	v_add_f64 v[36:37], v[58:59], v[30:31]
	v_fma_f64 v[58:59], v[56:57], s[4:5], v[28:29]
	v_fma_f64 v[28:29], v[56:57], s[6:7], v[28:29]
	v_lshlrev_b32_sdwa v56, v91, v85 dst_sel:DWORD dst_unused:UNUSED_PAD src0_sel:DWORD src1_sel:BYTE_0
	v_add3_u32 v56, 0, v56, v86
	v_add_u32_e32 v57, 0x800, v56
	ds_write2_b64 v57, v[36:37], v[58:59] offset0:212 offset1:225
	ds_write_b64 v56, v[28:29] offset:3952
.LBB0_16:
	s_or_b64 exec, exec, s[10:11]
	v_add_f64 v[28:29], v[54:55], v[18:19]
	v_add_f64 v[36:37], v[24:25], v[54:55]
	v_add_f64 v[44:45], v[44:45], -v[48:49]
	v_add_f64 v[48:49], v[40:41], v[2:3]
	v_add_f64 v[50:51], v[50:51], -v[52:53]
	v_add_f64 v[52:53], v[4:5], v[46:47]
	v_add_f64 v[46:47], v[46:47], v[10:11]
	v_add_f64 v[16:17], v[16:17], -v[38:39]
	v_fma_f64 v[24:25], v[28:29], -0.5, v[24:25]
	v_add_f64 v[28:29], v[6:7], v[40:41]
	v_add_f64 v[40:41], v[42:43], v[8:9]
	;; [unrolled: 1-line block ×3, first 2 shown]
	v_add_f64 v[12:13], v[12:13], -v[14:15]
	v_fma_f64 v[6:7], v[48:49], -0.5, v[6:7]
	v_fma_f64 v[4:5], v[46:47], -0.5, v[4:5]
	v_add_f64 v[42:43], v[36:37], v[18:19]
	v_fma_f64 v[46:47], v[50:51], s[6:7], v[24:25]
	v_fma_f64 v[24:25], v[50:51], s[4:5], v[24:25]
	v_fma_f64 v[0:1], v[40:41], -0.5, v[0:1]
	v_add_f64 v[58:59], v[38:39], v[8:9]
	v_add_f64 v[48:49], v[52:53], v[10:11]
	;; [unrolled: 1-line block ×3, first 2 shown]
	v_fma_f64 v[50:51], v[44:45], s[6:7], v[4:5]
	v_fma_f64 v[52:53], v[44:45], s[4:5], v[4:5]
	;; [unrolled: 1-line block ×6, first 2 shown]
	v_lshlrev_b32_e32 v0, 3, v80
	v_add3_u32 v38, 0, v0, v86
	v_add_u32_e32 v0, 0x400, v38
	v_add_u32_e32 v12, 0x800, v38
	s_waitcnt lgkmcnt(0)
	s_barrier
	ds_read2_b64 v[4:7], v89 offset0:39 offset1:78
	ds_read2_b64 v[16:19], v38 offset0:156 offset1:195
	;; [unrolled: 1-line block ×5, first 2 shown]
	ds_read_b64 v[36:37], v88
	ds_read_b64 v[44:45], v89 offset:936
	ds_read_b64 v[40:41], v38 offset:3744
	s_waitcnt lgkmcnt(0)
	s_barrier
	ds_write2_b64 v90, v[42:43], v[46:47] offset1:13
	ds_write_b64 v90, v[24:25] offset:208
	ds_write2_b64 v87, v[48:49], v[50:51] offset1:13
	ds_write_b64 v87, v[52:53] offset:208
	;; [unrolled: 2-line block ×4, first 2 shown]
	s_and_saveexec_b64 s[4:5], s[0:1]
	s_cbranch_execz .LBB0_18
; %bb.17:
	v_add_f64 v[24:25], v[34:35], v[22:23]
	v_add_f64 v[28:29], v[20:21], v[34:35]
	v_add_f64 v[26:27], v[26:27], -v[30:31]
	s_mov_b32 s1, 0xbfebb67a
	s_mov_b32 s0, 0xe8584caa
	v_fma_f64 v[20:21], v[24:25], -0.5, v[20:21]
	v_add_f64 v[22:23], v[28:29], v[22:23]
	v_fma_f64 v[24:25], v[26:27], s[0:1], v[20:21]
	s_mov_b32 s1, 0x3febb67a
	v_fma_f64 v[20:21], v[26:27], s[0:1], v[20:21]
	v_mov_b32_e32 v26, 3
	v_lshlrev_b32_sdwa v26, v26, v85 dst_sel:DWORD dst_unused:UNUSED_PAD src0_sel:DWORD src1_sel:BYTE_0
	v_add3_u32 v26, 0, v26, v86
	v_add_u32_e32 v27, 0x800, v26
	ds_write2_b64 v27, v[22:23], v[24:25] offset0:212 offset1:225
	ds_write_b64 v26, v[20:21] offset:3952
.LBB0_18:
	s_or_b64 exec, exec, s[4:5]
	s_waitcnt lgkmcnt(0)
	s_barrier
	s_and_saveexec_b64 s[0:1], vcc
	s_cbranch_execz .LBB0_20
; %bb.19:
	v_mul_u32_u24_e32 v20, 12, v80
	v_lshlrev_b32_e32 v39, 4, v20
	global_load_dwordx4 v[24:27], v39, s[8:9] offset:496
	global_load_dwordx4 v[20:23], v39, s[8:9] offset:512
	;; [unrolled: 1-line block ×12, first 2 shown]
	ds_read2_b64 v[94:97], v38 offset0:156 offset1:195
	v_add_u32_e32 v62, 0x400, v38
	v_add_u32_e32 v74, 0x800, v38
	ds_read2_b64 v[98:101], v89 offset0:39 offset1:78
	ds_read_b64 v[42:43], v38 offset:3744
	ds_read_b64 v[102:103], v89 offset:936
	ds_read_b64 v[38:39], v88
	ds_read2_b64 v[62:65], v62 offset0:106 offset1:145
	ds_read2_b64 v[86:89], v74 offset0:56 offset1:95
	;; [unrolled: 1-line block ×3, first 2 shown]
	s_mov_b32 s8, 0x93053d00
	s_mov_b32 s9, 0xbfef11f4
	;; [unrolled: 1-line block ×36, first 2 shown]
	s_waitcnt vmcnt(11)
	v_mul_f64 v[74:75], v[0:1], v[26:27]
	s_waitcnt vmcnt(10)
	v_mul_f64 v[80:81], v[2:3], v[22:23]
	s_waitcnt lgkmcnt(2)
	v_mul_f64 v[118:119], v[64:65], v[22:23]
	s_waitcnt vmcnt(9)
	v_mul_f64 v[22:23], v[18:19], v[34:35]
	v_mul_f64 v[34:35], v[96:97], v[34:35]
	s_waitcnt vmcnt(6)
	v_mul_f64 v[110:111], v[10:11], v[52:53]
	v_mul_f64 v[116:117], v[62:63], v[26:27]
	;; [unrolled: 1-line block ×3, first 2 shown]
	s_waitcnt lgkmcnt(1)
	v_mul_f64 v[108:109], v[86:87], v[30:31]
	v_mul_f64 v[30:31], v[16:17], v[48:49]
	s_waitcnt vmcnt(1)
	v_mul_f64 v[128:129], v[4:5], v[84:85]
	s_waitcnt vmcnt(0)
	v_mul_f64 v[130:131], v[40:41], v[92:93]
	v_mul_f64 v[112:113], v[94:95], v[48:49]
	;; [unrolled: 1-line block ×9, first 2 shown]
	v_fma_f64 v[52:53], v[62:63], v[24:25], v[74:75]
	v_fma_f64 v[48:49], v[64:65], v[20:21], v[80:81]
	;; [unrolled: 1-line block ×3, first 2 shown]
	v_fma_f64 v[64:65], v[18:19], v[32:33], -v[34:35]
	v_fma_f64 v[34:35], v[88:89], v[50:51], v[110:111]
	v_fma_f64 v[110:111], v[98:99], v[82:83], v[128:129]
	;; [unrolled: 1-line block ×3, first 2 shown]
	v_mul_f64 v[56:57], v[102:103], v[56:57]
	v_mul_f64 v[68:69], v[100:101], v[68:69]
	s_waitcnt lgkmcnt(0)
	v_mul_f64 v[72:73], v[106:107], v[72:73]
	v_fma_f64 v[74:75], v[94:95], v[46:47], v[30:31]
	v_fma_f64 v[80:81], v[16:17], v[46:47], -v[112:113]
	v_fma_f64 v[46:47], v[86:87], v[28:29], v[26:27]
	v_fma_f64 v[94:95], v[102:103], v[54:55], v[120:121]
	;; [unrolled: 1-line block ×4, first 2 shown]
	v_fma_f64 v[102:103], v[4:5], v[82:83], -v[84:85]
	v_fma_f64 v[26:27], v[40:41], v[90:91], -v[92:93]
	v_fma_f64 v[40:41], v[104:105], v[58:59], v[122:123]
	v_add_f64 v[122:123], v[110:111], v[22:23]
	v_mul_f64 v[60:61], v[104:105], v[60:61]
	v_fma_f64 v[100:101], v[6:7], v[66:67], -v[68:69]
	v_fma_f64 v[32:33], v[14:15], v[70:71], -v[72:73]
	v_add_f64 v[120:121], v[98:99], v[30:31]
	v_add_f64 v[92:93], v[110:111], -v[22:23]
	v_add_f64 v[86:87], v[102:103], -v[26:27]
	v_fma_f64 v[42:43], v[10:11], v[50:51], -v[114:115]
	v_mul_f64 v[4:5], v[122:123], s[8:9]
	v_fma_f64 v[96:97], v[44:45], v[54:55], -v[56:57]
	v_fma_f64 v[44:45], v[12:13], v[58:59], -v[60:61]
	;; [unrolled: 1-line block ×3, first 2 shown]
	v_add_f64 v[114:115], v[94:95], v[40:41]
	v_add_f64 v[84:85], v[100:101], -v[32:33]
	v_add_f64 v[90:91], v[98:99], -v[30:31]
	v_add_f64 v[88:89], v[102:103], v[26:27]
	v_mul_f64 v[6:7], v[92:93], s[20:21]
	v_mul_f64 v[8:9], v[120:121], s[10:11]
	v_fma_f64 v[10:11], v[86:87], s[14:15], v[4:5]
	v_add_f64 v[108:109], v[74:75], v[34:35]
	v_add_f64 v[58:59], v[96:97], -v[44:45]
	v_add_f64 v[82:83], v[100:101], v[32:33]
	v_add_f64 v[70:71], v[94:95], -v[40:41]
	v_mul_f64 v[12:13], v[90:91], s[22:23]
	v_fma_f64 v[14:15], v[88:89], s[8:9], v[6:7]
	v_mul_f64 v[16:17], v[114:115], s[0:1]
	v_fma_f64 v[18:19], v[84:85], s[16:17], v[8:9]
	v_add_f64 v[10:11], v[38:39], v[10:11]
	v_add_f64 v[50:51], v[80:81], -v[42:43]
	v_add_f64 v[66:67], v[74:75], -v[34:35]
	v_add_f64 v[60:61], v[96:97], v[44:45]
	v_add_f64 v[112:113], v[62:63], v[46:47]
	v_mul_f64 v[124:125], v[70:71], s[18:19]
	v_fma_f64 v[68:69], v[82:83], s[10:11], v[12:13]
	v_add_f64 v[14:15], v[36:37], v[14:15]
	v_mul_f64 v[126:127], v[108:109], s[4:5]
	v_fma_f64 v[104:105], v[58:59], s[12:13], v[16:17]
	v_add_f64 v[10:11], v[18:19], v[10:11]
	v_add_f64 v[54:55], v[80:81], v[42:43]
	v_add_f64 v[56:57], v[64:65], -v[28:29]
	v_add_f64 v[72:73], v[62:63], -v[46:47]
	v_mul_f64 v[18:19], v[66:67], s[24:25]
	v_fma_f64 v[106:107], v[60:61], s[0:1], v[124:125]
	v_add_f64 v[14:15], v[68:69], v[14:15]
	v_mul_f64 v[128:129], v[112:113], s[26:27]
	v_fma_f64 v[130:131], v[50:51], s[6:7], v[126:127]
	v_add_f64 v[10:11], v[104:105], v[10:11]
	v_add_f64 v[68:69], v[64:65], v[28:29]
	v_mul_f64 v[132:133], v[72:73], s[28:29]
	v_fma_f64 v[134:135], v[54:55], s[4:5], v[18:19]
	v_fma_f64 v[104:105], v[0:1], v[24:25], -v[116:117]
	v_add_f64 v[14:15], v[106:107], v[14:15]
	v_fma_f64 v[20:21], v[2:3], v[20:21], -v[118:119]
	v_fma_f64 v[2:3], v[56:57], s[30:31], v[128:129]
	v_add_f64 v[0:1], v[130:131], v[10:11]
	v_add_f64 v[24:25], v[52:53], v[48:49]
	v_fma_f64 v[4:5], v[86:87], s[20:21], v[4:5]
	v_fma_f64 v[10:11], v[68:69], s[26:27], v[132:133]
	v_fma_f64 v[6:7], v[88:89], s[8:9], -v[6:7]
	v_add_f64 v[14:15], v[134:135], v[14:15]
	v_add_f64 v[106:107], v[104:105], -v[20:21]
	v_fma_f64 v[16:17], v[58:59], s[18:19], v[16:17]
	v_add_f64 v[0:1], v[2:3], v[0:1]
	v_mul_f64 v[130:131], v[24:25], s[34:35]
	v_fma_f64 v[2:3], v[84:85], s[22:23], v[8:9]
	v_add_f64 v[4:5], v[38:39], v[4:5]
	v_add_f64 v[118:119], v[52:53], -v[48:49]
	v_add_f64 v[10:11], v[10:11], v[14:15]
	v_mul_f64 v[14:15], v[122:123], s[0:1]
	v_fma_f64 v[12:13], v[82:83], s[10:11], -v[12:13]
	v_add_f64 v[6:7], v[36:37], v[6:7]
	v_fma_f64 v[8:9], v[106:107], s[36:37], v[130:131]
	v_add_f64 v[116:117], v[104:105], v[20:21]
	v_add_f64 v[4:5], v[2:3], v[4:5]
	v_mul_f64 v[134:135], v[118:119], s[38:39]
	v_fma_f64 v[124:125], v[60:61], s[0:1], -v[124:125]
	v_mul_f64 v[136:137], v[114:115], s[4:5]
	v_mul_f64 v[142:143], v[90:91], s[38:39]
	v_add_f64 v[6:7], v[12:13], v[6:7]
	v_add_f64 v[2:3], v[8:9], v[0:1]
	v_fma_f64 v[0:1], v[86:87], s[12:13], v[14:15]
	v_mul_f64 v[8:9], v[120:121], s[34:35]
	v_add_f64 v[4:5], v[16:17], v[4:5]
	v_mul_f64 v[16:17], v[92:93], s[18:19]
	v_fma_f64 v[12:13], v[50:51], s[24:25], v[126:127]
	v_fma_f64 v[138:139], v[116:117], s[34:35], v[134:135]
	v_add_f64 v[6:7], v[124:125], v[6:7]
	v_fma_f64 v[124:125], v[58:59], s[24:25], v[136:137]
	v_add_f64 v[0:1], v[38:39], v[0:1]
	v_fma_f64 v[126:127], v[84:85], s[36:37], v[8:9]
	v_fma_f64 v[144:145], v[82:83], s[34:35], v[142:143]
	;; [unrolled: 1-line block ×3, first 2 shown]
	v_add_f64 v[4:5], v[12:13], v[4:5]
	v_fma_f64 v[12:13], v[54:55], s[4:5], -v[18:19]
	v_mul_f64 v[146:147], v[70:71], s[6:7]
	v_fma_f64 v[128:129], v[56:57], s[28:29], v[128:129]
	v_fma_f64 v[14:15], v[86:87], s[18:19], v[14:15]
	v_add_f64 v[18:19], v[126:127], v[0:1]
	v_mul_f64 v[126:127], v[108:109], s[8:9]
	v_add_f64 v[140:141], v[36:37], v[140:141]
	v_add_f64 v[0:1], v[138:139], v[10:11]
	;; [unrolled: 1-line block ×3, first 2 shown]
	v_fma_f64 v[12:13], v[68:69], s[26:27], -v[132:133]
	v_fma_f64 v[132:133], v[60:61], s[4:5], v[146:147]
	v_add_f64 v[4:5], v[128:129], v[4:5]
	v_add_f64 v[10:11], v[124:125], v[18:19]
	v_fma_f64 v[18:19], v[50:51], s[20:21], v[126:127]
	v_add_f64 v[124:125], v[144:145], v[140:141]
	v_mul_f64 v[128:129], v[66:67], s[14:15]
	v_mul_f64 v[138:139], v[112:113], s[10:11]
	v_add_f64 v[12:13], v[12:13], v[6:7]
	v_fma_f64 v[6:7], v[106:107], s[38:39], v[130:131]
	v_fma_f64 v[130:131], v[116:117], s[34:35], -v[134:135]
	v_mul_f64 v[140:141], v[24:25], s[26:27]
	v_add_f64 v[10:11], v[18:19], v[10:11]
	v_add_f64 v[18:19], v[132:133], v[124:125]
	v_fma_f64 v[124:125], v[54:55], s[8:9], v[128:129]
	v_mul_f64 v[132:133], v[72:73], s[22:23]
	v_fma_f64 v[134:135], v[56:57], s[16:17], v[138:139]
	v_add_f64 v[6:7], v[6:7], v[4:5]
	v_add_f64 v[4:5], v[130:131], v[12:13]
	v_fma_f64 v[8:9], v[84:85], s[38:39], v[8:9]
	v_add_f64 v[12:13], v[38:39], v[14:15]
	v_fma_f64 v[16:17], v[88:89], s[0:1], -v[16:17]
	v_add_f64 v[14:15], v[124:125], v[18:19]
	v_fma_f64 v[18:19], v[68:69], s[10:11], v[132:133]
	v_add_f64 v[10:11], v[134:135], v[10:11]
	v_fma_f64 v[124:125], v[106:107], s[30:31], v[140:141]
	v_mul_f64 v[130:131], v[122:123], s[26:27]
	v_mul_f64 v[134:135], v[118:119], s[28:29]
	v_add_f64 v[8:9], v[8:9], v[12:13]
	v_fma_f64 v[12:13], v[58:59], s[6:7], v[136:137]
	v_add_f64 v[16:17], v[36:37], v[16:17]
	v_add_f64 v[14:15], v[18:19], v[14:15]
	v_fma_f64 v[18:19], v[82:83], s[34:35], -v[142:143]
	v_add_f64 v[10:11], v[124:125], v[10:11]
	v_fma_f64 v[124:125], v[86:87], s[30:31], v[130:131]
	v_mul_f64 v[136:137], v[120:121], s[0:1]
	v_fma_f64 v[142:143], v[116:117], s[26:27], v[134:135]
	v_add_f64 v[12:13], v[12:13], v[8:9]
	v_mul_f64 v[144:145], v[92:93], s[28:29]
	v_fma_f64 v[126:127], v[50:51], s[14:15], v[126:127]
	v_add_f64 v[16:17], v[18:19], v[16:17]
	v_fma_f64 v[18:19], v[60:61], s[4:5], -v[146:147]
	v_add_f64 v[124:125], v[38:39], v[124:125]
	v_fma_f64 v[146:147], v[84:85], s[18:19], v[136:137]
	v_mul_f64 v[148:149], v[114:115], s[10:11]
	v_add_f64 v[8:9], v[142:143], v[14:15]
	v_fma_f64 v[14:15], v[88:89], s[26:27], v[144:145]
	v_mul_f64 v[142:143], v[90:91], s[12:13]
	v_add_f64 v[12:13], v[126:127], v[12:13]
	v_add_f64 v[16:17], v[18:19], v[16:17]
	v_fma_f64 v[18:19], v[54:55], s[8:9], -v[128:129]
	v_add_f64 v[124:125], v[146:147], v[124:125]
	v_fma_f64 v[126:127], v[58:59], s[16:17], v[148:149]
	v_mul_f64 v[128:129], v[108:109], s[34:35]
	v_add_f64 v[14:15], v[36:37], v[14:15]
	v_fma_f64 v[146:147], v[82:83], s[0:1], v[142:143]
	v_mul_f64 v[150:151], v[70:71], s[22:23]
	v_fma_f64 v[138:139], v[56:57], s[22:23], v[138:139]
	v_add_f64 v[16:17], v[18:19], v[16:17]
	v_fma_f64 v[18:19], v[68:69], s[10:11], -v[132:133]
	v_add_f64 v[124:125], v[126:127], v[124:125]
	v_fma_f64 v[126:127], v[50:51], s[38:39], v[128:129]
	v_mul_f64 v[132:133], v[112:113], s[8:9]
	v_add_f64 v[14:15], v[146:147], v[14:15]
	v_fma_f64 v[146:147], v[60:61], s[10:11], v[150:151]
	v_mul_f64 v[152:153], v[66:67], s[36:37]
	v_add_f64 v[12:13], v[138:139], v[12:13]
	v_add_f64 v[16:17], v[18:19], v[16:17]
	v_fma_f64 v[18:19], v[106:107], s[28:29], v[140:141]
	v_add_f64 v[124:125], v[126:127], v[124:125]
	v_fma_f64 v[126:127], v[86:87], s[28:29], v[130:131]
	v_fma_f64 v[130:131], v[56:57], s[20:21], v[132:133]
	v_add_f64 v[138:139], v[146:147], v[14:15]
	v_fma_f64 v[140:141], v[54:55], s[34:35], v[152:153]
	v_mul_f64 v[146:147], v[72:73], s[14:15]
	v_fma_f64 v[136:137], v[84:85], s[12:13], v[136:137]
	v_fma_f64 v[134:135], v[116:117], s[26:27], -v[134:135]
	v_mul_f64 v[154:155], v[24:25], s[4:5]
	v_add_f64 v[126:127], v[38:39], v[126:127]
	v_add_f64 v[14:15], v[18:19], v[12:13]
	;; [unrolled: 1-line block ×4, first 2 shown]
	v_fma_f64 v[130:131], v[88:89], s[26:27], -v[144:145]
	v_fma_f64 v[138:139], v[68:69], s[8:9], v[146:147]
	v_mul_f64 v[140:141], v[122:123], s[34:35]
	v_fma_f64 v[144:145], v[106:107], s[6:7], v[154:155]
	v_add_f64 v[126:127], v[136:137], v[126:127]
	v_fma_f64 v[136:137], v[58:59], s[22:23], v[148:149]
	v_add_f64 v[12:13], v[134:135], v[16:17]
	v_fma_f64 v[16:17], v[82:83], s[0:1], -v[142:143]
	v_add_f64 v[130:131], v[36:37], v[130:131]
	v_add_f64 v[124:125], v[138:139], v[124:125]
	v_fma_f64 v[134:135], v[86:87], s[38:39], v[140:141]
	v_mul_f64 v[138:139], v[120:121], s[8:9]
	v_add_f64 v[18:19], v[144:145], v[18:19]
	v_add_f64 v[126:127], v[136:137], v[126:127]
	v_mul_f64 v[136:137], v[92:93], s[36:37]
	v_fma_f64 v[128:129], v[50:51], s[36:37], v[128:129]
	v_add_f64 v[16:17], v[16:17], v[130:131]
	v_fma_f64 v[130:131], v[60:61], s[10:11], -v[150:151]
	v_add_f64 v[134:135], v[38:39], v[134:135]
	v_fma_f64 v[142:143], v[84:85], s[14:15], v[138:139]
	v_mul_f64 v[144:145], v[114:115], s[26:27]
	v_mul_f64 v[156:157], v[90:91], s[20:21]
	v_fma_f64 v[150:151], v[88:89], s[34:35], v[136:137]
	v_add_f64 v[126:127], v[128:129], v[126:127]
	v_fma_f64 v[128:129], v[54:55], s[34:35], -v[152:153]
	v_add_f64 v[16:17], v[130:131], v[16:17]
	v_mul_f64 v[158:159], v[70:71], s[30:31]
	v_add_f64 v[130:131], v[142:143], v[134:135]
	v_fma_f64 v[134:135], v[58:59], s[28:29], v[144:145]
	v_mul_f64 v[142:143], v[108:109], s[10:11]
	v_add_f64 v[150:151], v[36:37], v[150:151]
	v_fma_f64 v[152:153], v[82:83], s[8:9], v[156:157]
	v_fma_f64 v[132:133], v[56:57], s[14:15], v[132:133]
	v_mul_f64 v[148:149], v[118:119], s[24:25]
	v_add_f64 v[16:17], v[128:129], v[16:17]
	v_fma_f64 v[128:129], v[68:69], s[8:9], -v[146:147]
	v_add_f64 v[130:131], v[134:135], v[130:131]
	v_fma_f64 v[134:135], v[50:51], s[16:17], v[142:143]
	v_mul_f64 v[146:147], v[112:113], s[4:5]
	v_add_f64 v[150:151], v[152:153], v[150:151]
	v_fma_f64 v[152:153], v[60:61], s[26:27], v[158:159]
	v_mul_f64 v[160:161], v[66:67], s[22:23]
	v_add_f64 v[126:127], v[132:133], v[126:127]
	v_fma_f64 v[132:133], v[86:87], s[36:37], v[140:141]
	v_fma_f64 v[162:163], v[116:117], s[4:5], v[148:149]
	v_add_f64 v[128:129], v[128:129], v[16:17]
	v_add_f64 v[16:17], v[134:135], v[130:131]
	v_fma_f64 v[130:131], v[56:57], s[24:25], v[146:147]
	v_add_f64 v[134:135], v[152:153], v[150:151]
	v_fma_f64 v[140:141], v[54:55], s[10:11], v[160:161]
	v_mul_f64 v[150:151], v[72:73], s[6:7]
	v_fma_f64 v[138:139], v[84:85], s[20:21], v[138:139]
	v_add_f64 v[132:133], v[38:39], v[132:133]
	v_fma_f64 v[148:149], v[116:117], s[4:5], -v[148:149]
	v_fma_f64 v[154:155], v[106:107], s[24:25], v[154:155]
	v_add_f64 v[130:131], v[130:131], v[16:17]
	v_add_f64 v[16:17], v[162:163], v[124:125]
	;; [unrolled: 1-line block ×3, first 2 shown]
	v_fma_f64 v[140:141], v[68:69], s[4:5], v[150:151]
	v_mul_f64 v[162:163], v[122:123], s[4:5]
	v_add_f64 v[132:133], v[138:139], v[132:133]
	v_fma_f64 v[138:139], v[58:59], s[30:31], v[144:145]
	v_add_f64 v[124:125], v[148:149], v[128:129]
	v_add_f64 v[126:127], v[154:155], v[126:127]
	v_fma_f64 v[142:143], v[50:51], s[22:23], v[142:143]
	v_fma_f64 v[148:149], v[82:83], s[8:9], -v[156:157]
	v_add_f64 v[128:129], v[140:141], v[134:135]
	v_fma_f64 v[134:135], v[88:89], s[34:35], -v[136:137]
	v_fma_f64 v[136:137], v[86:87], s[24:25], v[162:163]
	v_mul_f64 v[140:141], v[120:121], s[26:27]
	v_add_f64 v[132:133], v[138:139], v[132:133]
	v_mul_f64 v[138:139], v[92:93], s[6:7]
	v_mul_f64 v[156:157], v[114:115], s[8:9]
	;; [unrolled: 1-line block ×3, first 2 shown]
	v_add_f64 v[110:111], v[38:39], v[110:111]
	v_add_f64 v[134:135], v[36:37], v[134:135]
	;; [unrolled: 1-line block ×3, first 2 shown]
	v_fma_f64 v[154:155], v[84:85], s[30:31], v[140:141]
	v_add_f64 v[102:103], v[36:37], v[102:103]
	v_fma_f64 v[166:167], v[88:89], s[4:5], v[138:139]
	v_add_f64 v[132:133], v[142:143], v[132:133]
	v_fma_f64 v[142:143], v[60:61], s[26:27], -v[158:159]
	v_mul_f64 v[170:171], v[70:71], s[20:21]
	v_add_f64 v[134:135], v[148:149], v[134:135]
	v_fma_f64 v[148:149], v[58:59], s[14:15], v[156:157]
	v_add_f64 v[136:137], v[154:155], v[136:137]
	v_mul_f64 v[154:155], v[108:109], s[0:1]
	v_add_f64 v[158:159], v[36:37], v[166:167]
	v_fma_f64 v[166:167], v[82:83], s[26:27], v[168:169]
	v_add_f64 v[98:99], v[98:99], v[110:111]
	v_add_f64 v[100:101], v[100:101], v[102:103]
	v_mul_f64 v[152:153], v[24:25], s[0:1]
	v_fma_f64 v[146:147], v[56:57], s[6:7], v[146:147]
	v_add_f64 v[134:135], v[142:143], v[134:135]
	v_fma_f64 v[142:143], v[54:55], s[10:11], -v[160:161]
	v_add_f64 v[136:137], v[148:149], v[136:137]
	v_fma_f64 v[148:149], v[50:51], s[18:19], v[154:155]
	v_mul_f64 v[160:161], v[112:113], s[34:35]
	v_add_f64 v[158:159], v[166:167], v[158:159]
	v_fma_f64 v[166:167], v[60:61], s[8:9], v[170:171]
	v_mul_f64 v[172:173], v[66:67], s[12:13]
	v_add_f64 v[94:95], v[94:95], v[98:99]
	v_add_f64 v[96:97], v[96:97], v[100:101]
	v_fma_f64 v[164:165], v[106:107], s[12:13], v[152:153]
	v_mul_f64 v[144:145], v[118:119], s[18:19]
	v_add_f64 v[132:133], v[146:147], v[132:133]
	v_add_f64 v[134:135], v[142:143], v[134:135]
	v_fma_f64 v[142:143], v[68:69], s[4:5], -v[150:151]
	v_fma_f64 v[146:147], v[106:107], s[18:19], v[152:153]
	v_add_f64 v[136:137], v[148:149], v[136:137]
	v_fma_f64 v[148:149], v[56:57], s[36:37], v[160:161]
	v_add_f64 v[150:151], v[166:167], v[158:159]
	v_fma_f64 v[152:153], v[54:55], s[0:1], v[172:173]
	v_mul_f64 v[158:159], v[72:73], s[38:39]
	v_add_f64 v[74:75], v[74:75], v[94:95]
	v_add_f64 v[80:81], v[80:81], v[96:97]
	;; [unrolled: 1-line block ×3, first 2 shown]
	v_fma_f64 v[164:165], v[116:117], s[0:1], v[144:145]
	v_add_f64 v[142:143], v[142:143], v[134:135]
	v_fma_f64 v[144:145], v[116:117], s[0:1], -v[144:145]
	v_add_f64 v[134:135], v[146:147], v[132:133]
	v_add_f64 v[136:137], v[148:149], v[136:137]
	;; [unrolled: 1-line block ×3, first 2 shown]
	v_fma_f64 v[148:149], v[86:87], s[6:7], v[162:163]
	v_fma_f64 v[150:151], v[68:69], s[34:35], v[158:159]
	v_mul_f64 v[152:153], v[122:123], s[10:11]
	v_add_f64 v[62:63], v[62:63], v[74:75]
	v_add_f64 v[64:65], v[64:65], v[80:81]
	v_mul_f64 v[92:93], v[92:93], s[16:17]
	v_add_f64 v[132:133], v[144:145], v[142:143]
	v_fma_f64 v[138:139], v[88:89], s[4:5], -v[138:139]
	v_add_f64 v[142:143], v[38:39], v[148:149]
	v_add_f64 v[144:145], v[150:151], v[146:147]
	v_fma_f64 v[146:147], v[86:87], s[22:23], v[152:153]
	v_mul_f64 v[148:149], v[120:121], s[4:5]
	v_fma_f64 v[86:87], v[86:87], s[16:17], v[152:153]
	v_add_f64 v[52:53], v[52:53], v[62:63]
	v_add_f64 v[62:63], v[104:105], v[64:65]
	v_mul_f64 v[74:75], v[90:91], s[6:7]
	v_fma_f64 v[80:81], v[88:89], s[10:11], v[92:93]
	v_fma_f64 v[88:89], v[88:89], s[10:11], -v[92:93]
	v_fma_f64 v[140:141], v[84:85], s[28:29], v[140:141]
	v_add_f64 v[146:147], v[38:39], v[146:147]
	v_fma_f64 v[150:151], v[84:85], s[24:25], v[148:149]
	v_mul_f64 v[114:115], v[114:115], s[34:35]
	v_fma_f64 v[84:85], v[84:85], s[6:7], v[148:149]
	v_add_f64 v[38:39], v[38:39], v[86:87]
	v_add_f64 v[48:49], v[48:49], v[52:53]
	;; [unrolled: 1-line block ×3, first 2 shown]
	v_fma_f64 v[120:121], v[82:83], s[26:27], -v[168:169]
	v_add_f64 v[138:139], v[36:37], v[138:139]
	v_fma_f64 v[64:65], v[82:83], s[4:5], v[74:75]
	v_add_f64 v[80:81], v[36:37], v[80:81]
	v_fma_f64 v[74:75], v[82:83], s[4:5], -v[74:75]
	v_add_f64 v[36:37], v[36:37], v[88:89]
	v_mul_f64 v[52:53], v[70:71], s[36:37]
	v_add_f64 v[140:141], v[140:141], v[142:143]
	v_fma_f64 v[142:143], v[58:59], s[20:21], v[156:157]
	v_add_f64 v[102:103], v[150:151], v[146:147]
	v_fma_f64 v[110:111], v[58:59], s[38:39], v[114:115]
	v_mul_f64 v[108:109], v[108:109], s[26:27]
	v_fma_f64 v[58:59], v[58:59], s[36:37], v[114:115]
	v_add_f64 v[38:39], v[84:85], v[38:39]
	v_add_f64 v[46:47], v[46:47], v[48:49]
	;; [unrolled: 1-line block ×4, first 2 shown]
	v_fma_f64 v[138:139], v[60:61], s[8:9], -v[170:171]
	v_add_f64 v[62:63], v[64:65], v[80:81]
	v_mul_f64 v[66:67], v[66:67], s[28:29]
	v_fma_f64 v[82:83], v[60:61], s[34:35], v[52:53]
	v_fma_f64 v[52:53], v[60:61], s[34:35], -v[52:53]
	v_add_f64 v[36:37], v[74:75], v[36:37]
	v_add_f64 v[140:141], v[142:143], v[140:141]
	v_fma_f64 v[142:143], v[50:51], s[12:13], v[154:155]
	v_add_f64 v[100:101], v[110:111], v[102:103]
	v_fma_f64 v[102:103], v[50:51], s[30:31], v[108:109]
	v_mul_f64 v[110:111], v[112:113], s[0:1]
	v_fma_f64 v[50:51], v[50:51], s[28:29], v[108:109]
	v_add_f64 v[38:39], v[58:59], v[38:39]
	v_add_f64 v[34:35], v[34:35], v[46:47]
	;; [unrolled: 1-line block ×4, first 2 shown]
	v_fma_f64 v[138:139], v[54:55], s[0:1], -v[172:173]
	v_mul_f64 v[72:73], v[72:73], s[18:19]
	v_fma_f64 v[28:29], v[54:55], s[26:27], v[66:67]
	v_add_f64 v[48:49], v[82:83], v[62:63]
	v_fma_f64 v[54:55], v[54:55], s[26:27], -v[66:67]
	v_add_f64 v[36:37], v[52:53], v[36:37]
	v_add_f64 v[128:129], v[164:165], v[128:129]
	v_mul_f64 v[164:165], v[24:25], s[10:11]
	v_fma_f64 v[46:47], v[56:57], s[18:19], v[110:111]
	v_add_f64 v[38:39], v[50:51], v[38:39]
	v_add_f64 v[34:35], v[40:41], v[34:35]
	;; [unrolled: 1-line block ×3, first 2 shown]
	v_mul_f64 v[24:25], v[24:25], s[8:9]
	v_mul_f64 v[84:85], v[118:119], s[20:21]
	v_add_f64 v[28:29], v[28:29], v[48:49]
	v_fma_f64 v[48:49], v[68:69], s[0:1], -v[72:73]
	v_add_f64 v[36:37], v[54:55], v[36:37]
	v_mul_f64 v[162:163], v[118:119], s[22:23]
	v_add_f64 v[140:141], v[142:143], v[140:141]
	v_fma_f64 v[98:99], v[56:57], s[38:39], v[160:161]
	v_add_f64 v[112:113], v[138:139], v[120:121]
	v_fma_f64 v[138:139], v[68:69], s[34:35], -v[158:159]
	v_fma_f64 v[122:123], v[106:107], s[16:17], v[164:165]
	v_add_f64 v[94:95], v[102:103], v[100:101]
	v_fma_f64 v[96:97], v[56:57], s[12:13], v[110:111]
	v_fma_f64 v[42:43], v[68:69], s[0:1], v[72:73]
	v_add_f64 v[38:39], v[46:47], v[38:39]
	v_add_f64 v[46:47], v[30:31], v[34:35]
	;; [unrolled: 1-line block ×3, first 2 shown]
	v_fma_f64 v[80:81], v[106:107], s[14:15], v[24:25]
	v_fma_f64 v[24:25], v[106:107], s[20:21], v[24:25]
	v_fma_f64 v[44:45], v[116:117], s[8:9], -v[84:85]
	v_add_f64 v[36:37], v[48:49], v[36:37]
	v_add_f64 v[98:99], v[98:99], v[140:141]
	;; [unrolled: 1-line block ×3, first 2 shown]
	v_fma_f64 v[64:65], v[106:107], s[22:23], v[164:165]
	v_fma_f64 v[70:71], v[116:117], s[10:11], -v[162:163]
	v_add_f64 v[122:123], v[122:123], v[136:137]
	v_fma_f64 v[136:137], v[116:117], s[10:11], v[162:163]
	v_add_f64 v[90:91], v[96:97], v[94:95]
	v_fma_f64 v[40:41], v[116:117], s[8:9], v[84:85]
	v_add_f64 v[42:43], v[42:43], v[28:29]
	v_add_f64 v[22:23], v[22:23], v[46:47]
	;; [unrolled: 1-line block ×7, first 2 shown]
	v_mov_b32_e32 v24, s3
	v_add_co_u32_e32 v26, vcc, s2, v76
	v_addc_co_u32_e32 v27, vcc, v24, v77, vcc
	v_lshlrev_b64 v[24:25], 4, v[78:79]
	v_add_f64 v[120:121], v[136:137], v[144:145]
	v_add_co_u32_e32 v24, vcc, v26, v24
	v_add_f64 v[34:35], v[80:81], v[90:91]
	v_add_f64 v[32:33], v[40:41], v[42:43]
	v_addc_co_u32_e32 v25, vcc, v27, v25, vcc
	s_movk_i32 s0, 0x1000
	global_store_dwordx4 v[24:25], v[20:23], off
	global_store_dwordx4 v[24:25], v[36:39], off offset:624
	global_store_dwordx4 v[24:25], v[28:31], off offset:1248
	;; [unrolled: 1-line block ×6, first 2 shown]
	s_nop 0
	v_add_co_u32_e32 v4, vcc, s0, v24
	v_addc_co_u32_e32 v5, vcc, 0, v25, vcc
	global_store_dwordx4 v[4:5], v[0:3], off offset:272
	global_store_dwordx4 v[4:5], v[8:11], off offset:896
	global_store_dwordx4 v[4:5], v[16:19], off offset:1520
	global_store_dwordx4 v[4:5], v[128:131], off offset:2144
	global_store_dwordx4 v[4:5], v[120:123], off offset:2768
	global_store_dwordx4 v[4:5], v[32:35], off offset:3392
.LBB0_20:
	s_endpgm
	.section	.rodata,"a",@progbits
	.p2align	6, 0x0
	.amdhsa_kernel fft_rtc_fwd_len507_factors_13_3_13_wgs_117_tpt_39_halfLds_dp_ip_CI_unitstride_sbrr_dirReg
		.amdhsa_group_segment_fixed_size 0
		.amdhsa_private_segment_fixed_size 0
		.amdhsa_kernarg_size 88
		.amdhsa_user_sgpr_count 6
		.amdhsa_user_sgpr_private_segment_buffer 1
		.amdhsa_user_sgpr_dispatch_ptr 0
		.amdhsa_user_sgpr_queue_ptr 0
		.amdhsa_user_sgpr_kernarg_segment_ptr 1
		.amdhsa_user_sgpr_dispatch_id 0
		.amdhsa_user_sgpr_flat_scratch_init 0
		.amdhsa_user_sgpr_private_segment_size 0
		.amdhsa_uses_dynamic_stack 0
		.amdhsa_system_sgpr_private_segment_wavefront_offset 0
		.amdhsa_system_sgpr_workgroup_id_x 1
		.amdhsa_system_sgpr_workgroup_id_y 0
		.amdhsa_system_sgpr_workgroup_id_z 0
		.amdhsa_system_sgpr_workgroup_info 0
		.amdhsa_system_vgpr_workitem_id 0
		.amdhsa_next_free_vgpr 174
		.amdhsa_next_free_sgpr 46
		.amdhsa_reserve_vcc 1
		.amdhsa_reserve_flat_scratch 0
		.amdhsa_float_round_mode_32 0
		.amdhsa_float_round_mode_16_64 0
		.amdhsa_float_denorm_mode_32 3
		.amdhsa_float_denorm_mode_16_64 3
		.amdhsa_dx10_clamp 1
		.amdhsa_ieee_mode 1
		.amdhsa_fp16_overflow 0
		.amdhsa_exception_fp_ieee_invalid_op 0
		.amdhsa_exception_fp_denorm_src 0
		.amdhsa_exception_fp_ieee_div_zero 0
		.amdhsa_exception_fp_ieee_overflow 0
		.amdhsa_exception_fp_ieee_underflow 0
		.amdhsa_exception_fp_ieee_inexact 0
		.amdhsa_exception_int_div_zero 0
	.end_amdhsa_kernel
	.text
.Lfunc_end0:
	.size	fft_rtc_fwd_len507_factors_13_3_13_wgs_117_tpt_39_halfLds_dp_ip_CI_unitstride_sbrr_dirReg, .Lfunc_end0-fft_rtc_fwd_len507_factors_13_3_13_wgs_117_tpt_39_halfLds_dp_ip_CI_unitstride_sbrr_dirReg
                                        ; -- End function
	.section	.AMDGPU.csdata,"",@progbits
; Kernel info:
; codeLenInByte = 11224
; NumSgprs: 50
; NumVgprs: 174
; ScratchSize: 0
; MemoryBound: 1
; FloatMode: 240
; IeeeMode: 1
; LDSByteSize: 0 bytes/workgroup (compile time only)
; SGPRBlocks: 6
; VGPRBlocks: 43
; NumSGPRsForWavesPerEU: 50
; NumVGPRsForWavesPerEU: 174
; Occupancy: 1
; WaveLimiterHint : 1
; COMPUTE_PGM_RSRC2:SCRATCH_EN: 0
; COMPUTE_PGM_RSRC2:USER_SGPR: 6
; COMPUTE_PGM_RSRC2:TRAP_HANDLER: 0
; COMPUTE_PGM_RSRC2:TGID_X_EN: 1
; COMPUTE_PGM_RSRC2:TGID_Y_EN: 0
; COMPUTE_PGM_RSRC2:TGID_Z_EN: 0
; COMPUTE_PGM_RSRC2:TIDIG_COMP_CNT: 0
	.type	__hip_cuid_314d731ea59f1c31,@object ; @__hip_cuid_314d731ea59f1c31
	.section	.bss,"aw",@nobits
	.globl	__hip_cuid_314d731ea59f1c31
__hip_cuid_314d731ea59f1c31:
	.byte	0                               ; 0x0
	.size	__hip_cuid_314d731ea59f1c31, 1

	.ident	"AMD clang version 19.0.0git (https://github.com/RadeonOpenCompute/llvm-project roc-6.4.0 25133 c7fe45cf4b819c5991fe208aaa96edf142730f1d)"
	.section	".note.GNU-stack","",@progbits
	.addrsig
	.addrsig_sym __hip_cuid_314d731ea59f1c31
	.amdgpu_metadata
---
amdhsa.kernels:
  - .args:
      - .actual_access:  read_only
        .address_space:  global
        .offset:         0
        .size:           8
        .value_kind:     global_buffer
      - .offset:         8
        .size:           8
        .value_kind:     by_value
      - .actual_access:  read_only
        .address_space:  global
        .offset:         16
        .size:           8
        .value_kind:     global_buffer
      - .actual_access:  read_only
        .address_space:  global
        .offset:         24
        .size:           8
        .value_kind:     global_buffer
      - .offset:         32
        .size:           8
        .value_kind:     by_value
      - .actual_access:  read_only
        .address_space:  global
        .offset:         40
        .size:           8
        .value_kind:     global_buffer
      - .actual_access:  read_only
        .address_space:  global
        .offset:         48
        .size:           8
        .value_kind:     global_buffer
      - .offset:         56
        .size:           4
        .value_kind:     by_value
      - .actual_access:  read_only
        .address_space:  global
        .offset:         64
        .size:           8
        .value_kind:     global_buffer
      - .actual_access:  read_only
        .address_space:  global
        .offset:         72
        .size:           8
        .value_kind:     global_buffer
      - .address_space:  global
        .offset:         80
        .size:           8
        .value_kind:     global_buffer
    .group_segment_fixed_size: 0
    .kernarg_segment_align: 8
    .kernarg_segment_size: 88
    .language:       OpenCL C
    .language_version:
      - 2
      - 0
    .max_flat_workgroup_size: 117
    .name:           fft_rtc_fwd_len507_factors_13_3_13_wgs_117_tpt_39_halfLds_dp_ip_CI_unitstride_sbrr_dirReg
    .private_segment_fixed_size: 0
    .sgpr_count:     50
    .sgpr_spill_count: 0
    .symbol:         fft_rtc_fwd_len507_factors_13_3_13_wgs_117_tpt_39_halfLds_dp_ip_CI_unitstride_sbrr_dirReg.kd
    .uniform_work_group_size: 1
    .uses_dynamic_stack: false
    .vgpr_count:     174
    .vgpr_spill_count: 0
    .wavefront_size: 64
amdhsa.target:   amdgcn-amd-amdhsa--gfx906
amdhsa.version:
  - 1
  - 2
...

	.end_amdgpu_metadata
